;; amdgpu-corpus repo=zjin-lcf/HeCBench kind=compiled arch=gfx906 opt=O3
	.amdgcn_target "amdgcn-amd-amdhsa--gfx906"
	.amdhsa_code_object_version 6
	.text
	.protected	_Z3kerPKfPfi            ; -- Begin function _Z3kerPKfPfi
	.globl	_Z3kerPKfPfi
	.p2align	8
	.type	_Z3kerPKfPfi,@function
_Z3kerPKfPfi:                           ; @_Z3kerPKfPfi
; %bb.0:
	s_load_dword s1, s[4:5], 0x24
	s_load_dword s0, s[4:5], 0x10
	v_mov_b32_e32 v1, 0
	s_waitcnt lgkmcnt(0)
	s_and_b32 s1, s1, 0xffff
	s_mul_i32 s6, s6, s1
	v_add_u32_e32 v0, s6, v0
	s_mul_hi_i32 s3, s0, s0
	s_mul_i32 s2, s0, s0
	v_cmp_gt_u64_e32 vcc, s[2:3], v[0:1]
	s_and_saveexec_b64 s[2:3], vcc
	s_cbranch_execz .LBB0_5
; %bb.1:
	s_ashr_i32 s1, s0, 31
	v_cmp_le_u64_e32 vcc, s[0:1], v[0:1]
	v_mov_b32_e32 v1, 0
	v_mov_b32_e32 v2, 0
	s_and_saveexec_b64 s[2:3], vcc
	s_cbranch_execz .LBB0_3
; %bb.2:
	v_cvt_f32_u32_e32 v1, s0
	s_sub_i32 s6, 0, s0
	v_rcp_iflag_f32_e32 v1, v1
	v_mul_f32_e32 v1, 0x4f7ffffe, v1
	v_cvt_u32_f32_e32 v1, v1
	v_mul_lo_u32 v2, s6, v1
	v_mul_hi_u32 v2, v1, v2
	v_add_u32_e32 v1, v1, v2
	v_mul_hi_u32 v1, v0, v1
	v_mul_lo_u32 v2, v1, s0
	v_add_u32_e32 v3, 1, v1
	v_sub_u32_e32 v2, v0, v2
	v_subrev_u32_e32 v4, s0, v2
	v_cmp_le_u32_e32 vcc, s0, v2
	v_cndmask_b32_e32 v2, v2, v4, vcc
	v_cndmask_b32_e32 v1, v1, v3, vcc
	v_add_u32_e32 v3, 1, v1
	v_cmp_le_u32_e32 vcc, s0, v2
	v_cndmask_b32_e32 v1, v1, v3, vcc
	v_mov_b32_e32 v2, 0
.LBB0_3:
	s_or_b64 exec, exec, s[2:3]
	v_mad_u64_u32 v[5:6], s[2:3], v1, s0, 0
	v_mov_b32_e32 v3, v6
	v_mad_u64_u32 v[6:7], s[2:3], v1, s1, v[3:4]
	v_sub_co_u32_e32 v3, vcc, v0, v5
	v_subb_co_u32_e32 v4, vcc, 0, v6, vcc
	v_cmp_lt_u64_e32 vcc, v[1:2], v[3:4]
	s_and_b64 exec, exec, vcc
	s_cbranch_execz .LBB0_5
; %bb.4:
	v_mul_lo_u32 v0, v4, s0
	v_mul_lo_u32 v9, v3, s1
	v_mad_u64_u32 v[7:8], s[0:1], v3, s0, 0
	s_load_dwordx4 s[0:3], s[4:5], 0x0
	v_add3_u32 v8, v8, v9, v0
	v_lshlrev_b64 v[7:8], 2, v[7:8]
	s_waitcnt lgkmcnt(0)
	v_mov_b32_e32 v0, s1
	v_add_co_u32_e32 v9, vcc, s0, v7
	v_addc_co_u32_e32 v0, vcc, v0, v8, vcc
	v_lshlrev_b64 v[7:8], 2, v[1:2]
	v_add_co_u32_e32 v7, vcc, v9, v7
	v_addc_co_u32_e32 v8, vcc, v0, v8, vcc
	global_load_dword v9, v[7:8], off
	v_mad_u64_u32 v[7:8], s[0:1], v1, v1, v[1:2]
	v_lshrrev_b64 v[7:8], 1, v[7:8]
	v_add_co_u32_e32 v7, vcc, v7, v1
	v_lshlrev_b64 v[0:1], 2, v[5:6]
	v_addc_co_u32_e32 v2, vcc, v8, v2, vcc
	v_mov_b32_e32 v5, s3
	v_add_co_u32_e32 v6, vcc, s2, v0
	v_addc_co_u32_e32 v5, vcc, v5, v1, vcc
	v_lshlrev_b64 v[0:1], 2, v[3:4]
	v_add_co_u32_e32 v3, vcc, v6, v0
	v_addc_co_u32_e32 v4, vcc, v5, v1, vcc
	v_not_b32_e32 v1, v2
	v_not_b32_e32 v0, v7
	v_lshlrev_b64 v[0:1], 2, v[0:1]
	v_add_co_u32_e32 v0, vcc, v3, v0
	v_addc_co_u32_e32 v1, vcc, v4, v1, vcc
	s_waitcnt vmcnt(0)
	global_store_dword v[0:1], v9, off
.LBB0_5:
	s_endpgm
	.section	.rodata,"a",@progbits
	.p2align	6, 0x0
	.amdhsa_kernel _Z3kerPKfPfi
		.amdhsa_group_segment_fixed_size 0
		.amdhsa_private_segment_fixed_size 0
		.amdhsa_kernarg_size 280
		.amdhsa_user_sgpr_count 6
		.amdhsa_user_sgpr_private_segment_buffer 1
		.amdhsa_user_sgpr_dispatch_ptr 0
		.amdhsa_user_sgpr_queue_ptr 0
		.amdhsa_user_sgpr_kernarg_segment_ptr 1
		.amdhsa_user_sgpr_dispatch_id 0
		.amdhsa_user_sgpr_flat_scratch_init 0
		.amdhsa_user_sgpr_private_segment_size 0
		.amdhsa_uses_dynamic_stack 0
		.amdhsa_system_sgpr_private_segment_wavefront_offset 0
		.amdhsa_system_sgpr_workgroup_id_x 1
		.amdhsa_system_sgpr_workgroup_id_y 0
		.amdhsa_system_sgpr_workgroup_id_z 0
		.amdhsa_system_sgpr_workgroup_info 0
		.amdhsa_system_vgpr_workitem_id 0
		.amdhsa_next_free_vgpr 10
		.amdhsa_next_free_sgpr 7
		.amdhsa_reserve_vcc 1
		.amdhsa_reserve_flat_scratch 0
		.amdhsa_float_round_mode_32 0
		.amdhsa_float_round_mode_16_64 0
		.amdhsa_float_denorm_mode_32 3
		.amdhsa_float_denorm_mode_16_64 3
		.amdhsa_dx10_clamp 1
		.amdhsa_ieee_mode 1
		.amdhsa_fp16_overflow 0
		.amdhsa_exception_fp_ieee_invalid_op 0
		.amdhsa_exception_fp_denorm_src 0
		.amdhsa_exception_fp_ieee_div_zero 0
		.amdhsa_exception_fp_ieee_overflow 0
		.amdhsa_exception_fp_ieee_underflow 0
		.amdhsa_exception_fp_ieee_inexact 0
		.amdhsa_exception_int_div_zero 0
	.end_amdhsa_kernel
	.text
.Lfunc_end0:
	.size	_Z3kerPKfPfi, .Lfunc_end0-_Z3kerPKfPfi
                                        ; -- End function
	.set _Z3kerPKfPfi.num_vgpr, 10
	.set _Z3kerPKfPfi.num_agpr, 0
	.set _Z3kerPKfPfi.numbered_sgpr, 7
	.set _Z3kerPKfPfi.num_named_barrier, 0
	.set _Z3kerPKfPfi.private_seg_size, 0
	.set _Z3kerPKfPfi.uses_vcc, 1
	.set _Z3kerPKfPfi.uses_flat_scratch, 0
	.set _Z3kerPKfPfi.has_dyn_sized_stack, 0
	.set _Z3kerPKfPfi.has_recursion, 0
	.set _Z3kerPKfPfi.has_indirect_call, 0
	.section	.AMDGPU.csdata,"",@progbits
; Kernel info:
; codeLenInByte = 416
; TotalNumSgprs: 11
; NumVgprs: 10
; ScratchSize: 0
; MemoryBound: 0
; FloatMode: 240
; IeeeMode: 1
; LDSByteSize: 0 bytes/workgroup (compile time only)
; SGPRBlocks: 1
; VGPRBlocks: 2
; NumSGPRsForWavesPerEU: 11
; NumVGPRsForWavesPerEU: 10
; Occupancy: 10
; WaveLimiterHint : 0
; COMPUTE_PGM_RSRC2:SCRATCH_EN: 0
; COMPUTE_PGM_RSRC2:USER_SGPR: 6
; COMPUTE_PGM_RSRC2:TRAP_HANDLER: 0
; COMPUTE_PGM_RSRC2:TGID_X_EN: 1
; COMPUTE_PGM_RSRC2:TGID_Y_EN: 0
; COMPUTE_PGM_RSRC2:TGID_Z_EN: 0
; COMPUTE_PGM_RSRC2:TIDIG_COMP_CNT: 0
	.text
	.protected	_Z4ker2PKfPfii          ; -- Begin function _Z4ker2PKfPfii
	.globl	_Z4ker2PKfPfii
	.p2align	8
	.type	_Z4ker2PKfPfii,@function
_Z4ker2PKfPfii:                         ; @_Z4ker2PKfPfii
; %bb.0:
	s_load_dword s0, s[4:5], 0x24
	s_load_dwordx2 s[8:9], s[4:5], 0x10
	v_mov_b32_e32 v1, 0
	s_waitcnt lgkmcnt(0)
	s_and_b32 s0, s0, 0xffff
	s_mul_i32 s6, s6, s0
	v_add_u32_e32 v0, s6, v0
	s_mul_hi_i32 s1, s9, s8
	s_mul_i32 s0, s9, s8
	v_cmp_gt_u64_e32 vcc, s[0:1], v[0:1]
	s_and_saveexec_b64 s[2:3], vcc
	s_cbranch_execz .LBB1_5
; %bb.1:
	s_mov_b32 s0, s9
	s_ashr_i32 s1, s9, 31
	v_cmp_le_u64_e32 vcc, s[0:1], v[0:1]
	v_mov_b32_e32 v1, 0
	s_ashr_i32 s3, s8, 31
	v_mov_b32_e32 v2, 0
	s_mov_b32 s2, s8
	s_and_saveexec_b64 s[6:7], vcc
	s_cbranch_execz .LBB1_3
; %bb.2:
	v_cvt_f32_u32_e32 v1, s0
	s_sub_i32 s8, 0, s0
	v_rcp_iflag_f32_e32 v1, v1
	v_mul_f32_e32 v1, 0x4f7ffffe, v1
	v_cvt_u32_f32_e32 v1, v1
	v_mul_lo_u32 v2, s8, v1
	v_mul_hi_u32 v2, v1, v2
	v_add_u32_e32 v1, v1, v2
	v_mul_hi_u32 v1, v0, v1
	v_mul_lo_u32 v2, v1, s0
	v_add_u32_e32 v3, 1, v1
	v_sub_u32_e32 v2, v0, v2
	v_subrev_u32_e32 v4, s0, v2
	v_cmp_le_u32_e32 vcc, s0, v2
	v_cndmask_b32_e32 v2, v2, v4, vcc
	v_cndmask_b32_e32 v1, v1, v3, vcc
	v_add_u32_e32 v3, 1, v1
	v_cmp_le_u32_e32 vcc, s0, v2
	v_cndmask_b32_e32 v1, v1, v3, vcc
	v_mov_b32_e32 v2, 0
.LBB1_3:
	s_or_b64 exec, exec, s[6:7]
	v_mad_u64_u32 v[5:6], s[6:7], v1, s0, 0
	v_mov_b32_e32 v3, v6
	v_mad_u64_u32 v[6:7], s[0:1], v1, s1, v[3:4]
	v_sub_co_u32_e32 v3, vcc, v0, v5
	v_subb_co_u32_e32 v4, vcc, 0, v6, vcc
	v_cmp_lt_u64_e32 vcc, v[1:2], v[3:4]
	v_cmp_gt_u64_e64 s[0:1], s[2:3], v[1:2]
	s_and_b64 s[0:1], s[0:1], vcc
	s_and_b64 exec, exec, s[0:1]
	s_cbranch_execz .LBB1_5
; %bb.4:
	v_mul_lo_u32 v0, v4, s2
	v_mul_lo_u32 v9, v3, s3
	v_mad_u64_u32 v[7:8], s[0:1], v3, s2, 0
	s_load_dwordx4 s[0:3], s[4:5], 0x0
	v_add3_u32 v8, v8, v9, v0
	v_lshlrev_b64 v[7:8], 2, v[7:8]
	s_waitcnt lgkmcnt(0)
	v_mov_b32_e32 v0, s1
	v_add_co_u32_e32 v9, vcc, s0, v7
	v_addc_co_u32_e32 v0, vcc, v0, v8, vcc
	v_lshlrev_b64 v[7:8], 2, v[1:2]
	v_add_co_u32_e32 v7, vcc, v9, v7
	v_addc_co_u32_e32 v8, vcc, v0, v8, vcc
	global_load_dword v9, v[7:8], off
	v_mad_u64_u32 v[7:8], s[0:1], v1, v1, v[1:2]
	v_lshrrev_b64 v[7:8], 1, v[7:8]
	v_add_co_u32_e32 v7, vcc, v7, v1
	v_lshlrev_b64 v[0:1], 2, v[5:6]
	v_addc_co_u32_e32 v2, vcc, v8, v2, vcc
	v_mov_b32_e32 v5, s3
	v_add_co_u32_e32 v6, vcc, s2, v0
	v_addc_co_u32_e32 v5, vcc, v5, v1, vcc
	v_lshlrev_b64 v[0:1], 2, v[3:4]
	v_add_co_u32_e32 v3, vcc, v6, v0
	v_addc_co_u32_e32 v4, vcc, v5, v1, vcc
	v_not_b32_e32 v1, v2
	v_not_b32_e32 v0, v7
	v_lshlrev_b64 v[0:1], 2, v[0:1]
	v_add_co_u32_e32 v0, vcc, v3, v0
	v_addc_co_u32_e32 v1, vcc, v4, v1, vcc
	s_waitcnt vmcnt(0)
	global_store_dword v[0:1], v9, off
.LBB1_5:
	s_endpgm
	.section	.rodata,"a",@progbits
	.p2align	6, 0x0
	.amdhsa_kernel _Z4ker2PKfPfii
		.amdhsa_group_segment_fixed_size 0
		.amdhsa_private_segment_fixed_size 0
		.amdhsa_kernarg_size 280
		.amdhsa_user_sgpr_count 6
		.amdhsa_user_sgpr_private_segment_buffer 1
		.amdhsa_user_sgpr_dispatch_ptr 0
		.amdhsa_user_sgpr_queue_ptr 0
		.amdhsa_user_sgpr_kernarg_segment_ptr 1
		.amdhsa_user_sgpr_dispatch_id 0
		.amdhsa_user_sgpr_flat_scratch_init 0
		.amdhsa_user_sgpr_private_segment_size 0
		.amdhsa_uses_dynamic_stack 0
		.amdhsa_system_sgpr_private_segment_wavefront_offset 0
		.amdhsa_system_sgpr_workgroup_id_x 1
		.amdhsa_system_sgpr_workgroup_id_y 0
		.amdhsa_system_sgpr_workgroup_id_z 0
		.amdhsa_system_sgpr_workgroup_info 0
		.amdhsa_system_vgpr_workitem_id 0
		.amdhsa_next_free_vgpr 10
		.amdhsa_next_free_sgpr 10
		.amdhsa_reserve_vcc 1
		.amdhsa_reserve_flat_scratch 0
		.amdhsa_float_round_mode_32 0
		.amdhsa_float_round_mode_16_64 0
		.amdhsa_float_denorm_mode_32 3
		.amdhsa_float_denorm_mode_16_64 3
		.amdhsa_dx10_clamp 1
		.amdhsa_ieee_mode 1
		.amdhsa_fp16_overflow 0
		.amdhsa_exception_fp_ieee_invalid_op 0
		.amdhsa_exception_fp_denorm_src 0
		.amdhsa_exception_fp_ieee_div_zero 0
		.amdhsa_exception_fp_ieee_overflow 0
		.amdhsa_exception_fp_ieee_underflow 0
		.amdhsa_exception_fp_ieee_inexact 0
		.amdhsa_exception_int_div_zero 0
	.end_amdhsa_kernel
	.text
.Lfunc_end1:
	.size	_Z4ker2PKfPfii, .Lfunc_end1-_Z4ker2PKfPfii
                                        ; -- End function
	.set _Z4ker2PKfPfii.num_vgpr, 10
	.set _Z4ker2PKfPfii.num_agpr, 0
	.set _Z4ker2PKfPfii.numbered_sgpr, 10
	.set _Z4ker2PKfPfii.num_named_barrier, 0
	.set _Z4ker2PKfPfii.private_seg_size, 0
	.set _Z4ker2PKfPfii.uses_vcc, 1
	.set _Z4ker2PKfPfii.uses_flat_scratch, 0
	.set _Z4ker2PKfPfii.has_dyn_sized_stack, 0
	.set _Z4ker2PKfPfii.has_recursion, 0
	.set _Z4ker2PKfPfii.has_indirect_call, 0
	.section	.AMDGPU.csdata,"",@progbits
; Kernel info:
; codeLenInByte = 440
; TotalNumSgprs: 14
; NumVgprs: 10
; ScratchSize: 0
; MemoryBound: 0
; FloatMode: 240
; IeeeMode: 1
; LDSByteSize: 0 bytes/workgroup (compile time only)
; SGPRBlocks: 1
; VGPRBlocks: 2
; NumSGPRsForWavesPerEU: 14
; NumVGPRsForWavesPerEU: 10
; Occupancy: 10
; WaveLimiterHint : 0
; COMPUTE_PGM_RSRC2:SCRATCH_EN: 0
; COMPUTE_PGM_RSRC2:USER_SGPR: 6
; COMPUTE_PGM_RSRC2:TRAP_HANDLER: 0
; COMPUTE_PGM_RSRC2:TGID_X_EN: 1
; COMPUTE_PGM_RSRC2:TGID_Y_EN: 0
; COMPUTE_PGM_RSRC2:TGID_Z_EN: 0
; COMPUTE_PGM_RSRC2:TIDIG_COMP_CNT: 0
	.section	.AMDGPU.gpr_maximums,"",@progbits
	.set amdgpu.max_num_vgpr, 0
	.set amdgpu.max_num_agpr, 0
	.set amdgpu.max_num_sgpr, 0
	.section	.AMDGPU.csdata,"",@progbits
	.type	__hip_cuid_26d44081bce04ddc,@object ; @__hip_cuid_26d44081bce04ddc
	.section	.bss,"aw",@nobits
	.globl	__hip_cuid_26d44081bce04ddc
__hip_cuid_26d44081bce04ddc:
	.byte	0                               ; 0x0
	.size	__hip_cuid_26d44081bce04ddc, 1

	.ident	"AMD clang version 22.0.0git (https://github.com/RadeonOpenCompute/llvm-project roc-7.2.4 26084 f58b06dce1f9c15707c5f808fd002e18c2accf7e)"
	.section	".note.GNU-stack","",@progbits
	.addrsig
	.addrsig_sym __hip_cuid_26d44081bce04ddc
	.amdgpu_metadata
---
amdhsa.kernels:
  - .args:
      - .address_space:  global
        .offset:         0
        .size:           8
        .value_kind:     global_buffer
      - .address_space:  global
        .offset:         8
        .size:           8
        .value_kind:     global_buffer
      - .offset:         16
        .size:           4
        .value_kind:     by_value
      - .offset:         24
        .size:           4
        .value_kind:     hidden_block_count_x
      - .offset:         28
        .size:           4
        .value_kind:     hidden_block_count_y
      - .offset:         32
        .size:           4
        .value_kind:     hidden_block_count_z
      - .offset:         36
        .size:           2
        .value_kind:     hidden_group_size_x
      - .offset:         38
        .size:           2
        .value_kind:     hidden_group_size_y
      - .offset:         40
        .size:           2
        .value_kind:     hidden_group_size_z
      - .offset:         42
        .size:           2
        .value_kind:     hidden_remainder_x
      - .offset:         44
        .size:           2
        .value_kind:     hidden_remainder_y
      - .offset:         46
        .size:           2
        .value_kind:     hidden_remainder_z
      - .offset:         64
        .size:           8
        .value_kind:     hidden_global_offset_x
      - .offset:         72
        .size:           8
        .value_kind:     hidden_global_offset_y
      - .offset:         80
        .size:           8
        .value_kind:     hidden_global_offset_z
      - .offset:         88
        .size:           2
        .value_kind:     hidden_grid_dims
    .group_segment_fixed_size: 0
    .kernarg_segment_align: 8
    .kernarg_segment_size: 280
    .language:       OpenCL C
    .language_version:
      - 2
      - 0
    .max_flat_workgroup_size: 1024
    .name:           _Z3kerPKfPfi
    .private_segment_fixed_size: 0
    .sgpr_count:     11
    .sgpr_spill_count: 0
    .symbol:         _Z3kerPKfPfi.kd
    .uniform_work_group_size: 1
    .uses_dynamic_stack: false
    .vgpr_count:     10
    .vgpr_spill_count: 0
    .wavefront_size: 64
  - .args:
      - .address_space:  global
        .offset:         0
        .size:           8
        .value_kind:     global_buffer
      - .address_space:  global
        .offset:         8
        .size:           8
        .value_kind:     global_buffer
      - .offset:         16
        .size:           4
        .value_kind:     by_value
      - .offset:         20
        .size:           4
        .value_kind:     by_value
      - .offset:         24
        .size:           4
        .value_kind:     hidden_block_count_x
      - .offset:         28
        .size:           4
        .value_kind:     hidden_block_count_y
      - .offset:         32
        .size:           4
        .value_kind:     hidden_block_count_z
      - .offset:         36
        .size:           2
        .value_kind:     hidden_group_size_x
      - .offset:         38
        .size:           2
        .value_kind:     hidden_group_size_y
      - .offset:         40
        .size:           2
        .value_kind:     hidden_group_size_z
      - .offset:         42
        .size:           2
        .value_kind:     hidden_remainder_x
      - .offset:         44
        .size:           2
        .value_kind:     hidden_remainder_y
      - .offset:         46
        .size:           2
        .value_kind:     hidden_remainder_z
      - .offset:         64
        .size:           8
        .value_kind:     hidden_global_offset_x
      - .offset:         72
        .size:           8
        .value_kind:     hidden_global_offset_y
      - .offset:         80
        .size:           8
        .value_kind:     hidden_global_offset_z
      - .offset:         88
        .size:           2
        .value_kind:     hidden_grid_dims
    .group_segment_fixed_size: 0
    .kernarg_segment_align: 8
    .kernarg_segment_size: 280
    .language:       OpenCL C
    .language_version:
      - 2
      - 0
    .max_flat_workgroup_size: 1024
    .name:           _Z4ker2PKfPfii
    .private_segment_fixed_size: 0
    .sgpr_count:     14
    .sgpr_spill_count: 0
    .symbol:         _Z4ker2PKfPfii.kd
    .uniform_work_group_size: 1
    .uses_dynamic_stack: false
    .vgpr_count:     10
    .vgpr_spill_count: 0
    .wavefront_size: 64
amdhsa.target:   amdgcn-amd-amdhsa--gfx906
amdhsa.version:
  - 1
  - 2
...

	.end_amdgpu_metadata
